;; amdgpu-corpus repo=ROCm/rocFFT kind=compiled arch=gfx950 opt=O3
	.text
	.amdgcn_target "amdgcn-amd-amdhsa--gfx950"
	.amdhsa_code_object_version 6
	.protected	fft_rtc_back_len140_factors_7_5_4_wgs_56_tpt_28_half_ip_CI_unitstride_sbrr_C2R_dirReg ; -- Begin function fft_rtc_back_len140_factors_7_5_4_wgs_56_tpt_28_half_ip_CI_unitstride_sbrr_C2R_dirReg
	.globl	fft_rtc_back_len140_factors_7_5_4_wgs_56_tpt_28_half_ip_CI_unitstride_sbrr_C2R_dirReg
	.p2align	8
	.type	fft_rtc_back_len140_factors_7_5_4_wgs_56_tpt_28_half_ip_CI_unitstride_sbrr_C2R_dirReg,@function
fft_rtc_back_len140_factors_7_5_4_wgs_56_tpt_28_half_ip_CI_unitstride_sbrr_C2R_dirReg: ; @fft_rtc_back_len140_factors_7_5_4_wgs_56_tpt_28_half_ip_CI_unitstride_sbrr_C2R_dirReg
; %bb.0:
	s_load_dwordx2 s[8:9], s[0:1], 0x50
	s_load_dwordx4 s[4:7], s[0:1], 0x0
	s_load_dwordx2 s[10:11], s[0:1], 0x18
	v_mul_u32_u24_e32 v1, 0x925, v0
	v_lshrrev_b32_e32 v1, 16, v1
	v_lshl_add_u32 v6, s2, 1, v1
	v_mov_b32_e32 v4, 0
	s_waitcnt lgkmcnt(0)
	v_cmp_lt_u64_e64 s[2:3], s[6:7], 2
	v_mov_b32_e32 v7, v4
	s_and_b64 vcc, exec, s[2:3]
	v_mov_b64_e32 v[2:3], 0
	s_cbranch_vccnz .LBB0_8
; %bb.1:
	s_load_dwordx2 s[2:3], s[0:1], 0x10
	s_add_u32 s12, s10, 8
	s_addc_u32 s13, s11, 0
	s_mov_b64 s[14:15], 1
	v_mov_b64_e32 v[2:3], 0
	s_waitcnt lgkmcnt(0)
	s_add_u32 s16, s2, 8
	s_addc_u32 s17, s3, 0
.LBB0_2:                                ; =>This Inner Loop Header: Depth=1
	s_load_dwordx2 s[18:19], s[16:17], 0x0
                                        ; implicit-def: $vgpr8_vgpr9
	s_waitcnt lgkmcnt(0)
	v_or_b32_e32 v5, s19, v7
	v_cmp_ne_u64_e32 vcc, 0, v[4:5]
	s_and_saveexec_b64 s[2:3], vcc
	s_xor_b64 s[20:21], exec, s[2:3]
	s_cbranch_execz .LBB0_4
; %bb.3:                                ;   in Loop: Header=BB0_2 Depth=1
	v_cvt_f32_u32_e32 v5, s18
	v_cvt_f32_u32_e32 v8, s19
	s_sub_u32 s2, 0, s18
	s_subb_u32 s3, 0, s19
	v_fmac_f32_e32 v5, 0x4f800000, v8
	v_rcp_f32_e32 v5, v5
	s_nop 0
	v_mul_f32_e32 v5, 0x5f7ffffc, v5
	v_mul_f32_e32 v8, 0x2f800000, v5
	v_trunc_f32_e32 v8, v8
	v_fmac_f32_e32 v5, 0xcf800000, v8
	v_cvt_u32_f32_e32 v12, v8
	v_cvt_u32_f32_e32 v5, v5
	v_mul_lo_u32 v8, s2, v12
	v_mul_hi_u32 v10, s2, v5
	v_mul_lo_u32 v9, s3, v5
	v_add_u32_e32 v10, v10, v8
	v_mul_lo_u32 v13, s2, v5
	v_add_u32_e32 v14, v10, v9
	v_mul_hi_u32 v8, v5, v13
	v_mul_hi_u32 v11, v5, v14
	v_mul_lo_u32 v10, v5, v14
	v_mov_b32_e32 v9, v4
	v_lshl_add_u64 v[8:9], v[8:9], 0, v[10:11]
	v_mul_hi_u32 v11, v12, v13
	v_mul_lo_u32 v13, v12, v13
	v_add_co_u32_e32 v8, vcc, v8, v13
	v_mul_hi_u32 v10, v12, v14
	s_nop 0
	v_addc_co_u32_e32 v8, vcc, v9, v11, vcc
	v_mov_b32_e32 v9, v4
	s_nop 0
	v_addc_co_u32_e32 v11, vcc, 0, v10, vcc
	v_mul_lo_u32 v10, v12, v14
	v_lshl_add_u64 v[8:9], v[8:9], 0, v[10:11]
	v_add_co_u32_e32 v5, vcc, v5, v8
	v_mul_lo_u32 v10, s2, v5
	s_nop 0
	v_addc_co_u32_e32 v12, vcc, v12, v9, vcc
	v_mul_lo_u32 v8, s2, v12
	v_mul_hi_u32 v9, s2, v5
	v_add_u32_e32 v8, v9, v8
	v_mul_lo_u32 v9, s3, v5
	v_add_u32_e32 v13, v8, v9
	v_mul_hi_u32 v15, v12, v10
	v_mul_lo_u32 v16, v12, v10
	v_mul_hi_u32 v9, v5, v13
	v_mul_lo_u32 v8, v5, v13
	v_mul_hi_u32 v10, v5, v10
	v_mov_b32_e32 v11, v4
	v_lshl_add_u64 v[8:9], v[10:11], 0, v[8:9]
	v_add_co_u32_e32 v8, vcc, v8, v16
	v_mul_hi_u32 v14, v12, v13
	s_nop 0
	v_addc_co_u32_e32 v8, vcc, v9, v15, vcc
	v_mul_lo_u32 v10, v12, v13
	s_nop 0
	v_addc_co_u32_e32 v11, vcc, 0, v14, vcc
	v_mov_b32_e32 v9, v4
	v_lshl_add_u64 v[8:9], v[8:9], 0, v[10:11]
	v_add_co_u32_e32 v5, vcc, v5, v8
	v_mul_hi_u32 v10, v6, v5
	s_nop 0
	v_addc_co_u32_e32 v12, vcc, v12, v9, vcc
	v_mad_u64_u32 v[8:9], s[2:3], v6, v12, 0
	v_mov_b32_e32 v11, v4
	v_lshl_add_u64 v[8:9], v[10:11], 0, v[8:9]
	v_mad_u64_u32 v[10:11], s[2:3], v7, v12, 0
	v_mad_u64_u32 v[12:13], s[2:3], v7, v5, 0
	v_add_co_u32_e32 v5, vcc, v8, v12
	s_nop 1
	v_addc_co_u32_e32 v8, vcc, v9, v13, vcc
	v_mov_b32_e32 v9, v4
	s_nop 0
	v_addc_co_u32_e32 v11, vcc, 0, v11, vcc
	v_lshl_add_u64 v[8:9], v[8:9], 0, v[10:11]
	v_mul_lo_u32 v5, s19, v8
	v_mul_lo_u32 v12, s18, v9
	v_mad_u64_u32 v[10:11], s[2:3], s18, v8, 0
	v_add3_u32 v5, v11, v12, v5
	v_sub_u32_e32 v11, v7, v5
	v_mov_b32_e32 v12, s19
	v_sub_co_u32_e32 v14, vcc, v6, v10
	s_nop 1
	v_subb_co_u32_e64 v10, s[2:3], v11, v12, vcc
	v_subrev_co_u32_e64 v11, s[2:3], s18, v14
	v_subb_co_u32_e32 v5, vcc, v7, v5, vcc
	s_nop 0
	v_subbrev_co_u32_e64 v10, s[2:3], 0, v10, s[2:3]
	v_cmp_le_u32_e64 s[2:3], s19, v10
	v_cmp_le_u32_e32 vcc, s19, v5
	s_nop 0
	v_cndmask_b32_e64 v12, 0, -1, s[2:3]
	v_cmp_le_u32_e64 s[2:3], s18, v11
	s_nop 1
	v_cndmask_b32_e64 v11, 0, -1, s[2:3]
	v_cmp_eq_u32_e64 s[2:3], s19, v10
	s_nop 1
	v_cndmask_b32_e64 v15, v12, v11, s[2:3]
	v_lshl_add_u64 v[10:11], v[8:9], 0, 2
	v_lshl_add_u64 v[12:13], v[8:9], 0, 1
	v_cmp_ne_u32_e64 s[2:3], 0, v15
	s_nop 1
	v_cndmask_b32_e64 v11, v13, v11, s[2:3]
	v_cndmask_b32_e64 v13, 0, -1, vcc
	v_cmp_le_u32_e32 vcc, s18, v14
	s_nop 1
	v_cndmask_b32_e64 v14, 0, -1, vcc
	v_cmp_eq_u32_e32 vcc, s19, v5
	s_nop 1
	v_cndmask_b32_e32 v5, v13, v14, vcc
	v_cmp_ne_u32_e32 vcc, 0, v5
	v_cndmask_b32_e64 v5, v12, v10, s[2:3]
	s_nop 0
	v_cndmask_b32_e32 v9, v9, v11, vcc
	v_cndmask_b32_e32 v8, v8, v5, vcc
.LBB0_4:                                ;   in Loop: Header=BB0_2 Depth=1
	s_andn2_saveexec_b64 s[2:3], s[20:21]
	s_cbranch_execz .LBB0_6
; %bb.5:                                ;   in Loop: Header=BB0_2 Depth=1
	v_cvt_f32_u32_e32 v5, s18
	s_sub_i32 s20, 0, s18
	v_rcp_iflag_f32_e32 v5, v5
	s_nop 0
	v_mul_f32_e32 v5, 0x4f7ffffe, v5
	v_cvt_u32_f32_e32 v5, v5
	v_mul_lo_u32 v8, s20, v5
	v_mul_hi_u32 v8, v5, v8
	v_add_u32_e32 v5, v5, v8
	v_mul_hi_u32 v5, v6, v5
	v_mul_lo_u32 v8, v5, s18
	v_sub_u32_e32 v8, v6, v8
	v_add_u32_e32 v9, 1, v5
	v_subrev_u32_e32 v10, s18, v8
	v_cmp_le_u32_e32 vcc, s18, v8
	s_nop 1
	v_cndmask_b32_e32 v8, v8, v10, vcc
	v_cndmask_b32_e32 v5, v5, v9, vcc
	v_add_u32_e32 v9, 1, v5
	v_cmp_le_u32_e32 vcc, s18, v8
	s_nop 1
	v_cndmask_b32_e32 v8, v5, v9, vcc
	v_mov_b32_e32 v9, v4
.LBB0_6:                                ;   in Loop: Header=BB0_2 Depth=1
	s_or_b64 exec, exec, s[2:3]
	v_mad_u64_u32 v[10:11], s[2:3], v8, s18, 0
	s_load_dwordx2 s[2:3], s[12:13], 0x0
	v_mul_lo_u32 v5, v9, s18
	v_mul_lo_u32 v12, v8, s19
	v_add3_u32 v5, v11, v12, v5
	v_sub_co_u32_e32 v6, vcc, v6, v10
	s_add_u32 s14, s14, 1
	s_nop 0
	v_subb_co_u32_e32 v5, vcc, v7, v5, vcc
	s_addc_u32 s15, s15, 0
	s_waitcnt lgkmcnt(0)
	v_mul_lo_u32 v5, s2, v5
	v_mul_lo_u32 v7, s3, v6
	v_mad_u64_u32 v[2:3], s[2:3], s2, v6, v[2:3]
	s_add_u32 s12, s12, 8
	v_add3_u32 v3, v7, v3, v5
	s_addc_u32 s13, s13, 0
	v_mov_b64_e32 v[6:7], s[6:7]
	s_add_u32 s16, s16, 8
	v_cmp_ge_u64_e32 vcc, s[14:15], v[6:7]
	s_addc_u32 s17, s17, 0
	s_cbranch_vccnz .LBB0_9
; %bb.7:                                ;   in Loop: Header=BB0_2 Depth=1
	v_mov_b64_e32 v[6:7], v[8:9]
	s_branch .LBB0_2
.LBB0_8:
	v_mov_b64_e32 v[8:9], v[6:7]
.LBB0_9:
	s_lshl_b64 s[2:3], s[6:7], 3
	s_add_u32 s2, s10, s2
	s_addc_u32 s3, s11, s3
	s_load_dwordx2 s[6:7], s[2:3], 0x0
	s_load_dwordx2 s[10:11], s[0:1], 0x20
	v_and_b32_e32 v1, 1, v1
	v_cmp_eq_u32_e32 vcc, 1, v1
	s_waitcnt lgkmcnt(0)
	v_mad_u64_u32 v[4:5], s[0:1], s6, v8, v[2:3]
	s_mov_b32 s0, 0x924924a
	v_mul_lo_u32 v6, s6, v9
	v_mul_lo_u32 v7, s7, v8
	v_mov_b32_e32 v2, 0x8d
	v_mul_hi_u32 v1, v0, s0
	v_add3_u32 v5, v7, v5, v6
	v_cndmask_b32_e32 v6, 0, v2, vcc
	v_mul_u32_u24_e32 v1, 28, v1
	v_cmp_gt_u64_e32 vcc, s[10:11], v[8:9]
	v_sub_u32_e32 v2, v0, v1
	v_lshl_add_u64 v[0:1], v[4:5], 2, s[8:9]
	v_lshlrev_b32_e32 v7, 2, v6
	s_and_saveexec_b64 s[2:3], vcc
	s_cbranch_execz .LBB0_13
; %bb.10:
	v_mov_b32_e32 v3, 0
	v_lshl_add_u64 v[4:5], v[2:3], 2, v[0:1]
	global_load_dword v8, v[4:5], off
	global_load_dword v9, v[4:5], off offset:112
	global_load_dword v10, v[4:5], off offset:224
	;; [unrolled: 1-line block ×4, first 2 shown]
	v_lshlrev_b32_e32 v3, 2, v2
	v_add3_u32 v3, 0, v7, v3
	v_cmp_eq_u32_e64 s[0:1], 27, v2
	s_waitcnt vmcnt(3)
	ds_write2_b32 v3, v8, v9 offset1:28
	s_waitcnt vmcnt(1)
	ds_write2_b32 v3, v10, v11 offset0:56 offset1:84
	s_waitcnt vmcnt(0)
	ds_write_b32 v3, v12 offset:448
	s_and_saveexec_b64 s[6:7], s[0:1]
	s_cbranch_execz .LBB0_12
; %bb.11:
	global_load_dword v2, v[0:1], off offset:560
	s_waitcnt vmcnt(0)
	ds_write_b32 v3, v2 offset:452
	v_mov_b32_e32 v2, 27
.LBB0_12:
	s_or_b64 exec, exec, s[6:7]
.LBB0_13:
	s_or_b64 exec, exec, s[2:3]
	v_lshl_add_u32 v10, v6, 2, 0
	v_lshlrev_b32_e32 v3, 2, v2
	v_add_u32_e32 v11, v10, v3
	s_waitcnt lgkmcnt(0)
	; wave barrier
	s_waitcnt lgkmcnt(0)
	v_sub_u32_e32 v8, v10, v3
	ds_read_u16 v3, v11
	ds_read_u16 v4, v8 offset:560
	v_cmp_ne_u32_e64 s[0:1], 0, v2
	s_waitcnt lgkmcnt(0)
	v_add_f16_e32 v12, v4, v3
	v_sub_f16_e32 v9, v3, v4
                                        ; implicit-def: $vgpr4_vgpr5
	s_and_saveexec_b64 s[2:3], s[0:1]
	s_xor_b64 s[0:1], exec, s[2:3]
	s_cbranch_execz .LBB0_15
; %bb.14:
	v_mov_b32_e32 v3, 0
	v_lshl_add_u64 v[4:5], v[2:3], 2, s[4:5]
	global_load_dword v4, v[4:5], off offset:532
	ds_read_u16 v5, v8 offset:562
	ds_read_u16 v13, v11 offset:2
	s_waitcnt lgkmcnt(0)
	v_add_f16_e32 v14, v5, v13
	v_sub_f16_e32 v5, v13, v5
	s_waitcnt vmcnt(0)
	v_lshrrev_b32_e32 v13, 16, v4
	v_fma_f16 v15, v9, v13, v12
	v_fma_f16 v16, v14, v13, v5
	v_fma_f16 v12, -v9, v13, v12
	v_fma_f16 v5, v14, v13, -v5
	v_fma_f16 v13, -v4, v14, v15
	v_fma_f16 v15, v9, v4, v16
	v_fma_f16 v12, v4, v14, v12
	;; [unrolled: 1-line block ×3, first 2 shown]
	v_pack_b32_f16 v5, v13, v15
	v_pack_b32_f16 v4, v12, v4
	ds_write_b32 v11, v5
	ds_write_b32 v8, v4 offset:560
	v_mov_b64_e32 v[4:5], v[2:3]
                                        ; implicit-def: $vgpr12
                                        ; implicit-def: $vgpr9
.LBB0_15:
	s_andn2_saveexec_b64 s[0:1], s[0:1]
	s_cbranch_execz .LBB0_17
; %bb.16:
	v_pack_b32_f16 v3, v12, v9
	ds_write_b32 v11, v3
	ds_read_b32 v3, v10 offset:280
	s_mov_b32 s2, 0xc0004000
	v_mov_b64_e32 v[4:5], 0
	s_waitcnt lgkmcnt(0)
	v_pk_mul_f16 v3, v3, s2
	ds_write_b32 v10, v3 offset:280
.LBB0_17:
	s_or_b64 exec, exec, s[0:1]
	s_add_u32 s0, s4, 0x214
	s_addc_u32 s1, s5, 0
	v_lshl_add_u64 v[4:5], v[4:5], 2, s[0:1]
	global_load_dword v3, v[4:5], off offset:112
	ds_read_b32 v9, v11 offset:112
	ds_read_b32 v12, v8 offset:448
	v_cmp_gt_u32_e64 s[0:1], 14, v2
	s_waitcnt lgkmcnt(0)
	v_add_f16_e32 v13, v9, v12
	v_add_f16_sdwa v14, v12, v9 dst_sel:DWORD dst_unused:UNUSED_PAD src0_sel:WORD_1 src1_sel:WORD_1
	v_sub_f16_e32 v15, v9, v12
	v_sub_f16_sdwa v9, v9, v12 dst_sel:DWORD dst_unused:UNUSED_PAD src0_sel:WORD_1 src1_sel:WORD_1
	s_waitcnt vmcnt(0)
	v_lshrrev_b32_e32 v12, 16, v3
	v_fma_f16 v16, v15, v12, v13
	v_fma_f16 v17, v14, v12, v9
	v_fma_f16 v13, -v15, v12, v13
	v_fma_f16 v9, v14, v12, -v9
	v_fma_f16 v12, -v3, v14, v16
	v_fma_f16 v16, v15, v3, v17
	v_fma_f16 v13, v3, v14, v13
	v_fma_f16 v3, v15, v3, v9
	v_pack_b32_f16 v9, v12, v16
	v_pack_b32_f16 v3, v13, v3
	ds_write_b32 v11, v9 offset:112
	ds_write_b32 v8, v3 offset:448
	s_and_saveexec_b64 s[2:3], s[0:1]
	s_cbranch_execz .LBB0_19
; %bb.18:
	global_load_dword v3, v[4:5], off offset:224
	ds_read_b32 v4, v11 offset:224
	ds_read_b32 v5, v8 offset:336
	s_waitcnt lgkmcnt(0)
	v_add_f16_e32 v9, v4, v5
	v_add_f16_sdwa v12, v5, v4 dst_sel:DWORD dst_unused:UNUSED_PAD src0_sel:WORD_1 src1_sel:WORD_1
	v_sub_f16_e32 v13, v4, v5
	v_sub_f16_sdwa v4, v4, v5 dst_sel:DWORD dst_unused:UNUSED_PAD src0_sel:WORD_1 src1_sel:WORD_1
	s_waitcnt vmcnt(0)
	v_lshrrev_b32_e32 v5, 16, v3
	v_fma_f16 v14, v13, v5, v9
	v_fma_f16 v15, v12, v5, v4
	v_fma_f16 v9, -v13, v5, v9
	v_fma_f16 v4, v12, v5, -v4
	v_fma_f16 v5, -v3, v12, v14
	v_fma_f16 v14, v13, v3, v15
	v_fma_f16 v9, v3, v12, v9
	;; [unrolled: 1-line block ×3, first 2 shown]
	v_pack_b32_f16 v4, v5, v14
	v_pack_b32_f16 v3, v9, v3
	ds_write_b32 v11, v4 offset:224
	ds_write_b32 v8, v3 offset:336
.LBB0_19:
	s_or_b64 exec, exec, s[2:3]
	v_lshl_add_u32 v8, v2, 2, 0
	v_lshl_add_u32 v3, v6, 2, v8
	s_waitcnt lgkmcnt(0)
	; wave barrier
	s_waitcnt lgkmcnt(0)
	s_waitcnt lgkmcnt(0)
	; wave barrier
	s_waitcnt lgkmcnt(0)
	ds_read2_b32 v[4:5], v3 offset0:20 offset1:40
	ds_read2_b32 v[12:13], v3 offset0:100 offset1:120
	;; [unrolled: 1-line block ×3, first 2 shown]
	ds_read_b32 v6, v11
	s_movk_i32 s0, 0x3a52
	s_mov_b32 s1, 0xbb00
	s_waitcnt lgkmcnt(2)
	v_pk_add_f16 v9, v4, v13
	v_pk_add_f16 v17, v5, v12
	s_waitcnt lgkmcnt(1)
	v_pk_add_f16 v18, v14, v15
	v_pk_add_f16 v5, v5, v12 neg_lo:[0,1] neg_hi:[0,1]
	v_pk_add_f16 v12, v15, v14 neg_lo:[0,1] neg_hi:[0,1]
	v_pk_add_f16 v16, v17, v9
	v_pk_add_f16 v4, v4, v13 neg_lo:[0,1] neg_hi:[0,1]
	v_pk_add_f16 v13, v17, v9 neg_lo:[0,1] neg_hi:[0,1]
	;; [unrolled: 1-line block ×3, first 2 shown]
	v_pk_add_f16 v14, v12, v5
	v_pk_add_f16 v19, v18, v16
	v_pk_add_f16 v20, v4, v12 neg_lo:[0,1] neg_hi:[0,1]
	v_pk_add_f16 v15, v5, v4 neg_lo:[0,1] neg_hi:[0,1]
	v_pk_add_f16 v16, v14, v4
	v_pk_mul_f16 v4, v9, s0 op_sel_hi:[1,0]
	s_movk_i32 s0, 0x39e0
	v_pk_mul_f16 v9, v13, s0 op_sel_hi:[1,0]
	s_mov_b32 s0, 0xb574
	s_waitcnt lgkmcnt(0)
	v_pk_add_f16 v6, v6, v19
	v_pk_mul_f16 v13, v20, s0 op_sel_hi:[1,0]
	v_pk_mul_f16 v15, v15, s1 op_sel_hi:[1,0]
	s_mov_b32 s1, 0xbcab
	v_pk_add_f16 v17, v18, v17 neg_lo:[0,1] neg_hi:[0,1]
	s_movk_i32 s7, 0x2b26
	v_pk_add_f16 v18, v12, v5 neg_lo:[0,1] neg_hi:[0,1]
	s_movk_i32 s8, 0x3846
	s_mov_b32 s6, 0xb70e
	v_pk_fma_f16 v14, v19, s1, v6 op_sel_hi:[1,0,1]
	v_pk_add_f16 v19, v4, v9 op_sel:[1,1] op_sel_hi:[0,0] neg_lo:[1,1] neg_hi:[1,1]
	v_pk_fma_f16 v20, v20, s0, v15 op_sel_hi:[1,0,1] neg_lo:[1,0,1] neg_hi:[1,0,1]
	v_pk_fma_f16 v4, v17, s7, v4 op_sel_hi:[1,0,1]
	v_pk_fma_f16 v5, v18, s8, v13 op_sel_hi:[1,0,1]
	v_pk_add_f16 v19, v19, v14 op_sel:[0,1] op_sel_hi:[1,0]
	v_pk_add_f16 v13, v4, v14
	v_pk_fma_f16 v21, v16, s6, v5 op_sel_hi:[1,0,1]
	v_pk_fma_f16 v4, v16, s6, v20 op_sel_hi:[1,0,1]
	v_cmp_gt_u32_e64 s[0:1], 20, v2
	v_pk_add_f16 v5, v19, v4 neg_lo:[0,1] neg_hi:[0,1]
	v_pk_add_f16 v12, v19, v4
	v_pk_add_f16 v4, v13, v21 op_sel:[0,1] op_sel_hi:[1,0] neg_lo:[0,1] neg_hi:[0,1]
	v_pk_add_f16 v13, v13, v21 op_sel:[0,1] op_sel_hi:[1,0]
	s_waitcnt lgkmcnt(0)
	; wave barrier
	s_and_saveexec_b64 s[2:3], s[0:1]
	s_cbranch_execz .LBB0_21
; %bb.20:
	v_pk_mul_f16 v17, v17, s7 op_sel_hi:[1,0]
	v_pk_mul_f16 v18, v18, s8 op_sel_hi:[1,0]
	;; [unrolled: 1-line block ×3, first 2 shown]
	v_pk_add_f16 v15, v15, v18 neg_lo:[0,1] neg_hi:[0,1]
	v_pk_add_f16 v9, v9, v17 neg_lo:[0,1] neg_hi:[0,1]
	s_mov_b32 s0, 0xffff
	v_mul_u32_u24_e32 v20, 24, v2
	v_pk_add_f16 v15, v16, v15
	v_pk_add_f16 v9, v9, v14
	v_add3_u32 v8, v8, v20, v7
	v_bfi_b32 v20, s0, v13, v4
	v_pk_add_f16 v14, v9, v15 op_sel:[0,1] op_sel_hi:[1,0] neg_lo:[0,1] neg_hi:[0,1]
	v_pk_add_f16 v9, v9, v15 op_sel:[0,1] op_sel_hi:[1,0]
	ds_write2_b32 v8, v6, v20 offset1:1
	v_alignbit_b32 v6, v5, v12, 16
	v_bfi_b32 v15, s0, v14, v9
	ds_write2_b32 v8, v6, v15 offset0:2 offset1:3
	v_bfi_b32 v6, s0, v9, v14
	v_alignbit_b32 v9, v12, v5, 16
	v_bfi_b32 v19, s0, v4, v13
	ds_write2_b32 v8, v6, v9 offset0:4 offset1:5
	ds_write_b32 v8, v19 offset:24
.LBB0_21:
	s_or_b64 exec, exec, s[2:3]
	v_mov_b32_e32 v6, 37
	v_mul_lo_u16_sdwa v6, v2, v6 dst_sel:DWORD dst_unused:UNUSED_PAD src0_sel:BYTE_0 src1_sel:DWORD
	v_sub_u16_sdwa v8, v2, v6 dst_sel:DWORD dst_unused:UNUSED_PAD src0_sel:DWORD src1_sel:BYTE_1
	v_lshrrev_b16_e32 v8, 1, v8
	v_and_b32_e32 v8, 0x7f, v8
	v_add_u16_sdwa v6, v8, v6 dst_sel:DWORD dst_unused:UNUSED_PAD src0_sel:DWORD src1_sel:BYTE_1
	v_lshrrev_b16_e32 v20, 2, v6
	v_mul_lo_u16_e32 v6, 7, v20
	v_sub_u16_e32 v6, v2, v6
	v_mov_b32_e32 v8, 4
	v_lshlrev_b32_sdwa v8, v8, v6 dst_sel:DWORD dst_unused:UNUSED_PAD src0_sel:DWORD src1_sel:BYTE_0
	s_waitcnt lgkmcnt(0)
	; wave barrier
	s_waitcnt lgkmcnt(0)
	global_load_dwordx4 v[14:17], v8, s[4:5]
	ds_read_b32 v21, v11
	ds_read_u16 v22, v11 offset:2
	ds_read2_b32 v[8:9], v3 offset0:28 offset1:56
	ds_read2_b32 v[18:19], v3 offset0:84 offset1:112
	v_mov_b32_e32 v23, 2
	s_mov_b32 s6, 0xffff
	s_mov_b32 s0, 0x7060302
	;; [unrolled: 1-line block ×3, first 2 shown]
	s_waitcnt lgkmcnt(1)
	v_lshrrev_b32_e32 v24, 16, v8
	v_alignbit_b32 v25, v9, v8, 16
	v_bfi_b32 v8, s6, v8, v9
	s_waitcnt lgkmcnt(0)
	v_lshrrev_b32_e32 v26, 16, v18
	v_perm_b32 v28, v18, v19, s0
	v_perm_b32 v29, v18, v19, s1
	v_lshlrev_b32_sdwa v23, v23, v6 dst_sel:DWORD dst_unused:UNUSED_PAD src0_sel:DWORD src1_sel:BYTE_0
	v_lshrrev_b32_e32 v27, 16, v19
	s_mov_b32 s2, 0xbb9c
	s_movk_i32 s8, 0x3b9c
	s_mov_b32 s10, 0x38b43b9c
	s_mov_b32 s3, 0xb8b4
	s_movk_i32 s9, 0x38b4
	s_movk_i32 s7, 0x34f2
	s_waitcnt lgkmcnt(0)
	; wave barrier
	s_waitcnt vmcnt(0)
	v_alignbit_b32 v6, v15, v14, 16
	v_lshrrev_b32_e32 v30, 16, v15
	v_bfi_b32 v15, s6, v14, v15
	v_mul_f16_sdwa v18, v16, v18 dst_sel:DWORD dst_unused:UNUSED_PAD src0_sel:WORD_1 src1_sel:DWORD
	v_perm_b32 v32, v16, v17, s0
	v_perm_b32 v31, v16, v17, s1
	v_pk_mul_f16 v33, v6, v8
	v_pk_mul_f16 v8, v15, v8
	v_fma_f16 v15, v16, v26, -v18
	v_pk_mul_f16 v16, v32, v28
	v_mul_f16_sdwa v19, v17, v19 dst_sel:DWORD dst_unused:UNUSED_PAD src0_sel:WORD_1 src1_sel:DWORD
	v_fma_f16 v18, v14, v24, -v33
	v_pk_fma_f16 v6, v6, v25, v8
	v_lshrrev_b32_e32 v8, 16, v33
	v_pk_fma_f16 v14, v31, v29, v16
	v_fma_f16 v17, v17, v27, -v19
	v_fma_f16 v8, -v30, v9, v8
	v_add_f16_e32 v9, v6, v21
	v_add_f16_sdwa v19, v6, v14 dst_sel:DWORD dst_unused:UNUSED_PAD src0_sel:WORD_1 src1_sel:WORD_1
	v_sub_f16_sdwa v25, v14, v14 dst_sel:DWORD dst_unused:UNUSED_PAD src0_sel:DWORD src1_sel:WORD_1
	v_sub_f16_sdwa v26, v6, v6 dst_sel:DWORD dst_unused:UNUSED_PAD src0_sel:DWORD src1_sel:WORD_1
	v_add_f16_e32 v27, v6, v14
	v_sub_f16_sdwa v28, v14, v14 dst_sel:DWORD dst_unused:UNUSED_PAD src0_sel:WORD_1 src1_sel:DWORD
	v_sub_f16_sdwa v29, v6, v6 dst_sel:DWORD dst_unused:UNUSED_PAD src0_sel:WORD_1 src1_sel:DWORD
	v_add_f16_e32 v30, v22, v18
	v_sub_f16_e32 v24, v18, v17
	v_pk_add_f16 v31, v6, v14 neg_lo:[0,1] neg_hi:[0,1]
	v_add_f16_sdwa v6, v9, v6 dst_sel:DWORD dst_unused:UNUSED_PAD src0_sel:DWORD src1_sel:WORD_1
	v_fma_f16 v9, v19, -0.5, v21
	v_sub_f16_e32 v19, v8, v15
	v_add_f16_e32 v25, v26, v25
	v_fma_f16 v21, v27, -0.5, v21
	v_add_f16_e32 v26, v29, v28
	v_add_f16_e32 v27, v30, v8
	;; [unrolled: 1-line block ×3, first 2 shown]
	v_sub_f16_e32 v16, v17, v15
	v_pk_mul_f16 v29, v31, s10
	v_sub_f16_e32 v30, v18, v8
	v_add_f16_sdwa v6, v6, v14 dst_sel:DWORD dst_unused:UNUSED_PAD src0_sel:DWORD src1_sel:WORD_1
	v_fma_f16 v33, v24, s2, v9
	v_fma_f16 v9, v24, s8, v9
	;; [unrolled: 1-line block ×4, first 2 shown]
	v_add_f16_e32 v27, v27, v15
	v_fma_f16 v28, v28, -0.5, v22
	v_add_f16_e32 v16, v30, v16
	v_add_f16_e32 v30, v6, v14
	v_fma_f16 v6, v19, s3, v33
	v_fma_f16 v9, v19, s9, v9
	;; [unrolled: 1-line block ×4, first 2 shown]
	v_add_f16_e32 v21, v27, v17
	v_add_f16_e32 v24, v28, v29
	v_sub_f16_e32 v27, v28, v29
	v_add_f16_e32 v32, v18, v17
	v_fma_f16 v28, v25, s7, v6
	v_fma_f16 v6, v25, s7, v9
	;; [unrolled: 1-line block ×3, first 2 shown]
	v_add_f16_sdwa v14, v29, v24 dst_sel:DWORD dst_unused:UNUSED_PAD src0_sel:WORD_1 src1_sel:DWORD
	v_sub_f16_sdwa v24, v27, v29 dst_sel:DWORD dst_unused:UNUSED_PAD src0_sel:DWORD src1_sel:WORD_1
	v_fma_f16 v25, v16, s7, v14
	v_fma_f16 v14, v16, s7, v24
	v_fma_f16 v16, v32, -0.5, v22
	v_lshrrev_b32_e32 v22, 16, v31
	v_fma_f16 v24, v22, s2, v16
	v_sub_f16_e32 v8, v8, v18
	v_sub_f16_e32 v15, v15, v17
	v_fma_f16 v16, v22, s8, v16
	v_fma_f16 v24, v31, s9, v24
	v_add_f16_e32 v8, v8, v15
	v_fma_f16 v16, v31, s3, v16
	s_movk_i32 s0, 0x8c
	v_fma_f16 v19, v26, s7, v19
	v_fma_f16 v15, v8, s7, v24
	;; [unrolled: 1-line block ×3, first 2 shown]
	v_mad_u32_u24 v16, v20, s0, 0
	v_add3_u32 v7, v16, v23, v7
	v_pack_b32_f16 v9, v9, v15
	v_pack_b32_f16 v8, v19, v8
	;; [unrolled: 1-line block ×4, first 2 shown]
	ds_write2_b32 v7, v9, v8 offset0:14 offset1:21
	v_pack_b32_f16 v8, v6, v14
	ds_write2_b32 v7, v16, v17 offset1:7
	ds_write_b32 v7, v8 offset:112
	s_waitcnt lgkmcnt(0)
	; wave barrier
	s_waitcnt lgkmcnt(0)
	ds_read2_b32 v[8:9], v3 offset0:35 offset1:70
	ds_read_b32 v15, v11
	ds_read_b32 v16, v3 offset:420
	v_cmp_gt_u32_e64 s[0:1], 7, v2
	v_lshrrev_b32_e32 v11, 16, v13
	s_nop 0
	v_alignbit_b32 v7, s0, v5, 16
	s_and_saveexec_b64 s[2:3], s[0:1]
	s_cbranch_execz .LBB0_23
; %bb.22:
	ds_read2_b32 v[6:7], v3 offset0:28 offset1:63
	ds_read2_b32 v[4:5], v3 offset0:98 offset1:133
	s_waitcnt lgkmcnt(1)
	v_lshrrev_b32_e32 v14, 16, v6
	v_lshrrev_b32_e32 v12, 16, v7
	s_waitcnt lgkmcnt(0)
	v_lshrrev_b32_e32 v11, 16, v4
	v_bfi_b32 v7, s6, v7, v5
.LBB0_23:
	s_or_b64 exec, exec, s[2:3]
	v_mul_u32_u24_e32 v13, 3, v2
	v_lshlrev_b32_e32 v13, 2, v13
	global_load_dwordx3 v[18:20], v13, s[4:5] offset:112
	s_waitcnt lgkmcnt(0)
	v_lshrrev_b32_e32 v17, 16, v16
	v_lshrrev_b32_e32 v21, 16, v9
	;; [unrolled: 1-line block ×4, first 2 shown]
	s_waitcnt lgkmcnt(0)
	; wave barrier
	s_waitcnt vmcnt(0)
	v_mul_f16_sdwa v23, v18, v22 dst_sel:DWORD dst_unused:UNUSED_PAD src0_sel:WORD_1 src1_sel:DWORD
	v_mul_f16_sdwa v24, v18, v8 dst_sel:DWORD dst_unused:UNUSED_PAD src0_sel:WORD_1 src1_sel:DWORD
	;; [unrolled: 1-line block ×6, first 2 shown]
	v_fma_f16 v8, v18, v8, v23
	v_fma_f16 v18, v18, v22, -v24
	v_fma_f16 v9, v19, v9, v25
	v_fma_f16 v19, v19, v21, -v26
	;; [unrolled: 2-line block ×3, first 2 shown]
	v_sub_f16_e32 v9, v15, v9
	v_sub_f16_e32 v19, v13, v19
	;; [unrolled: 1-line block ×4, first 2 shown]
	v_fma_f16 v15, v15, 2.0, -v9
	v_fma_f16 v13, v13, 2.0, -v19
	;; [unrolled: 1-line block ×4, first 2 shown]
	v_add_f16_e32 v17, v9, v17
	v_sub_f16_e32 v16, v19, v16
	v_sub_f16_e32 v8, v15, v8
	;; [unrolled: 1-line block ×3, first 2 shown]
	v_fma_f16 v9, v9, 2.0, -v17
	v_fma_f16 v19, v19, 2.0, -v16
	;; [unrolled: 1-line block ×4, first 2 shown]
	v_pack_b32_f16 v9, v9, v19
	v_pack_b32_f16 v13, v15, v13
	;; [unrolled: 1-line block ×4, first 2 shown]
	ds_write2_b32 v3, v13, v9 offset1:35
	ds_write2_b32 v3, v8, v16 offset0:70 offset1:105
	s_and_saveexec_b64 s[2:3], s[0:1]
	s_cbranch_execz .LBB0_25
; %bb.24:
	v_add_u32_e32 v8, 28, v2
	v_add_u32_e32 v9, -7, v2
	v_cndmask_b32_e64 v8, v9, v8, s[0:1]
	v_mul_i32_i24_e32 v8, 3, v8
	v_mov_b32_e32 v9, 0
	v_lshl_add_u64 v[8:9], v[8:9], 2, s[4:5]
	global_load_dwordx3 v[16:18], v[8:9], off offset:112
	v_lshrrev_b32_e32 v8, 16, v7
	s_waitcnt vmcnt(0)
	v_mul_f16_sdwa v9, v11, v17 dst_sel:DWORD dst_unused:UNUSED_PAD src0_sel:DWORD src1_sel:WORD_1
	v_mul_f16_sdwa v13, v7, v16 dst_sel:DWORD dst_unused:UNUSED_PAD src0_sel:DWORD src1_sel:WORD_1
	;; [unrolled: 1-line block ×6, first 2 shown]
	v_fma_f16 v4, v4, v17, v9
	v_fma_f16 v9, v12, v16, -v13
	v_fma_f16 v8, v8, v18, -v15
	;; [unrolled: 1-line block ×3, first 2 shown]
	v_fma_f16 v7, v7, v16, v20
	v_fma_f16 v5, v5, v18, v21
	v_sub_f16_e32 v4, v6, v4
	v_sub_f16_e32 v8, v9, v8
	;; [unrolled: 1-line block ×4, first 2 shown]
	v_add_f16_e32 v12, v4, v8
	v_sub_f16_e32 v13, v11, v5
	v_fma_f16 v6, v6, 2.0, -v4
	v_fma_f16 v5, v7, 2.0, -v5
	;; [unrolled: 1-line block ×4, first 2 shown]
	v_sub_f16_e32 v5, v6, v5
	v_sub_f16_e32 v8, v7, v8
	v_fma_f16 v4, v4, 2.0, -v12
	v_fma_f16 v9, v11, 2.0, -v13
	;; [unrolled: 1-line block ×4, first 2 shown]
	v_pack_b32_f16 v4, v4, v9
	v_pack_b32_f16 v6, v6, v7
	;; [unrolled: 1-line block ×4, first 2 shown]
	ds_write2_b32 v3, v6, v4 offset0:28 offset1:63
	ds_write2_b32 v3, v5, v11 offset0:98 offset1:133
.LBB0_25:
	s_or_b64 exec, exec, s[2:3]
	s_waitcnt lgkmcnt(0)
	; wave barrier
	s_waitcnt lgkmcnt(0)
	s_and_saveexec_b64 s[0:1], vcc
	s_cbranch_execz .LBB0_27
; %bb.26:
	v_lshl_add_u32 v10, v2, 2, v10
	ds_read2_b32 v[4:5], v10 offset1:28
	v_mov_b32_e32 v3, 0
	v_lshl_add_u64 v[8:9], v[2:3], 2, v[0:1]
	v_add_u32_e32 v6, 28, v2
	v_mov_b32_e32 v7, v3
	s_waitcnt lgkmcnt(0)
	global_store_dword v[8:9], v4, off
	ds_read2_b32 v[8:9], v10 offset0:56 offset1:84
	v_lshl_add_u64 v[6:7], v[6:7], 2, v[0:1]
	global_store_dword v[6:7], v5, off
	ds_read_b32 v6, v10 offset:448
	v_add_u32_e32 v4, 56, v2
	v_mov_b32_e32 v5, v3
	v_lshl_add_u64 v[4:5], v[4:5], 2, v[0:1]
	s_waitcnt lgkmcnt(1)
	global_store_dword v[4:5], v8, off
	v_add_u32_e32 v4, 0x54, v2
	v_mov_b32_e32 v5, v3
	v_add_u32_e32 v2, 0x70, v2
	v_lshl_add_u64 v[4:5], v[4:5], 2, v[0:1]
	v_lshl_add_u64 v[0:1], v[2:3], 2, v[0:1]
	global_store_dword v[4:5], v9, off
	s_waitcnt lgkmcnt(0)
	global_store_dword v[0:1], v6, off
.LBB0_27:
	s_endpgm
	.section	.rodata,"a",@progbits
	.p2align	6, 0x0
	.amdhsa_kernel fft_rtc_back_len140_factors_7_5_4_wgs_56_tpt_28_half_ip_CI_unitstride_sbrr_C2R_dirReg
		.amdhsa_group_segment_fixed_size 0
		.amdhsa_private_segment_fixed_size 0
		.amdhsa_kernarg_size 88
		.amdhsa_user_sgpr_count 2
		.amdhsa_user_sgpr_dispatch_ptr 0
		.amdhsa_user_sgpr_queue_ptr 0
		.amdhsa_user_sgpr_kernarg_segment_ptr 1
		.amdhsa_user_sgpr_dispatch_id 0
		.amdhsa_user_sgpr_kernarg_preload_length 0
		.amdhsa_user_sgpr_kernarg_preload_offset 0
		.amdhsa_user_sgpr_private_segment_size 0
		.amdhsa_uses_dynamic_stack 0
		.amdhsa_enable_private_segment 0
		.amdhsa_system_sgpr_workgroup_id_x 1
		.amdhsa_system_sgpr_workgroup_id_y 0
		.amdhsa_system_sgpr_workgroup_id_z 0
		.amdhsa_system_sgpr_workgroup_info 0
		.amdhsa_system_vgpr_workitem_id 0
		.amdhsa_next_free_vgpr 35
		.amdhsa_next_free_sgpr 22
		.amdhsa_accum_offset 36
		.amdhsa_reserve_vcc 1
		.amdhsa_float_round_mode_32 0
		.amdhsa_float_round_mode_16_64 0
		.amdhsa_float_denorm_mode_32 3
		.amdhsa_float_denorm_mode_16_64 3
		.amdhsa_dx10_clamp 1
		.amdhsa_ieee_mode 1
		.amdhsa_fp16_overflow 0
		.amdhsa_tg_split 0
		.amdhsa_exception_fp_ieee_invalid_op 0
		.amdhsa_exception_fp_denorm_src 0
		.amdhsa_exception_fp_ieee_div_zero 0
		.amdhsa_exception_fp_ieee_overflow 0
		.amdhsa_exception_fp_ieee_underflow 0
		.amdhsa_exception_fp_ieee_inexact 0
		.amdhsa_exception_int_div_zero 0
	.end_amdhsa_kernel
	.text
.Lfunc_end0:
	.size	fft_rtc_back_len140_factors_7_5_4_wgs_56_tpt_28_half_ip_CI_unitstride_sbrr_C2R_dirReg, .Lfunc_end0-fft_rtc_back_len140_factors_7_5_4_wgs_56_tpt_28_half_ip_CI_unitstride_sbrr_C2R_dirReg
                                        ; -- End function
	.section	.AMDGPU.csdata,"",@progbits
; Kernel info:
; codeLenInByte = 4320
; NumSgprs: 28
; NumVgprs: 35
; NumAgprs: 0
; TotalNumVgprs: 35
; ScratchSize: 0
; MemoryBound: 0
; FloatMode: 240
; IeeeMode: 1
; LDSByteSize: 0 bytes/workgroup (compile time only)
; SGPRBlocks: 3
; VGPRBlocks: 4
; NumSGPRsForWavesPerEU: 28
; NumVGPRsForWavesPerEU: 35
; AccumOffset: 36
; Occupancy: 8
; WaveLimiterHint : 1
; COMPUTE_PGM_RSRC2:SCRATCH_EN: 0
; COMPUTE_PGM_RSRC2:USER_SGPR: 2
; COMPUTE_PGM_RSRC2:TRAP_HANDLER: 0
; COMPUTE_PGM_RSRC2:TGID_X_EN: 1
; COMPUTE_PGM_RSRC2:TGID_Y_EN: 0
; COMPUTE_PGM_RSRC2:TGID_Z_EN: 0
; COMPUTE_PGM_RSRC2:TIDIG_COMP_CNT: 0
; COMPUTE_PGM_RSRC3_GFX90A:ACCUM_OFFSET: 8
; COMPUTE_PGM_RSRC3_GFX90A:TG_SPLIT: 0
	.text
	.p2alignl 6, 3212836864
	.fill 256, 4, 3212836864
	.type	__hip_cuid_32b2b8cde8c34947,@object ; @__hip_cuid_32b2b8cde8c34947
	.section	.bss,"aw",@nobits
	.globl	__hip_cuid_32b2b8cde8c34947
__hip_cuid_32b2b8cde8c34947:
	.byte	0                               ; 0x0
	.size	__hip_cuid_32b2b8cde8c34947, 1

	.ident	"AMD clang version 19.0.0git (https://github.com/RadeonOpenCompute/llvm-project roc-6.4.0 25133 c7fe45cf4b819c5991fe208aaa96edf142730f1d)"
	.section	".note.GNU-stack","",@progbits
	.addrsig
	.addrsig_sym __hip_cuid_32b2b8cde8c34947
	.amdgpu_metadata
---
amdhsa.kernels:
  - .agpr_count:     0
    .args:
      - .actual_access:  read_only
        .address_space:  global
        .offset:         0
        .size:           8
        .value_kind:     global_buffer
      - .offset:         8
        .size:           8
        .value_kind:     by_value
      - .actual_access:  read_only
        .address_space:  global
        .offset:         16
        .size:           8
        .value_kind:     global_buffer
      - .actual_access:  read_only
        .address_space:  global
        .offset:         24
        .size:           8
        .value_kind:     global_buffer
      - .offset:         32
        .size:           8
        .value_kind:     by_value
      - .actual_access:  read_only
        .address_space:  global
        .offset:         40
        .size:           8
        .value_kind:     global_buffer
      - .actual_access:  read_only
        .address_space:  global
        .offset:         48
        .size:           8
        .value_kind:     global_buffer
      - .offset:         56
        .size:           4
        .value_kind:     by_value
      - .actual_access:  read_only
        .address_space:  global
        .offset:         64
        .size:           8
        .value_kind:     global_buffer
      - .actual_access:  read_only
        .address_space:  global
        .offset:         72
        .size:           8
        .value_kind:     global_buffer
      - .address_space:  global
        .offset:         80
        .size:           8
        .value_kind:     global_buffer
    .group_segment_fixed_size: 0
    .kernarg_segment_align: 8
    .kernarg_segment_size: 88
    .language:       OpenCL C
    .language_version:
      - 2
      - 0
    .max_flat_workgroup_size: 56
    .name:           fft_rtc_back_len140_factors_7_5_4_wgs_56_tpt_28_half_ip_CI_unitstride_sbrr_C2R_dirReg
    .private_segment_fixed_size: 0
    .sgpr_count:     28
    .sgpr_spill_count: 0
    .symbol:         fft_rtc_back_len140_factors_7_5_4_wgs_56_tpt_28_half_ip_CI_unitstride_sbrr_C2R_dirReg.kd
    .uniform_work_group_size: 1
    .uses_dynamic_stack: false
    .vgpr_count:     35
    .vgpr_spill_count: 0
    .wavefront_size: 64
amdhsa.target:   amdgcn-amd-amdhsa--gfx950
amdhsa.version:
  - 1
  - 2
...

	.end_amdgpu_metadata
